;; amdgpu-corpus repo=ROCm/rocFFT kind=compiled arch=gfx906 opt=O3
	.text
	.amdgcn_target "amdgcn-amd-amdhsa--gfx906"
	.amdhsa_code_object_version 6
	.protected	fft_rtc_back_len600_factors_10_6_10_wgs_60_tpt_60_halfLds_dp_op_CI_CI_unitstride_sbrr_R2C_dirReg ; -- Begin function fft_rtc_back_len600_factors_10_6_10_wgs_60_tpt_60_halfLds_dp_op_CI_CI_unitstride_sbrr_R2C_dirReg
	.globl	fft_rtc_back_len600_factors_10_6_10_wgs_60_tpt_60_halfLds_dp_op_CI_CI_unitstride_sbrr_R2C_dirReg
	.p2align	8
	.type	fft_rtc_back_len600_factors_10_6_10_wgs_60_tpt_60_halfLds_dp_op_CI_CI_unitstride_sbrr_R2C_dirReg,@function
fft_rtc_back_len600_factors_10_6_10_wgs_60_tpt_60_halfLds_dp_op_CI_CI_unitstride_sbrr_R2C_dirReg: ; @fft_rtc_back_len600_factors_10_6_10_wgs_60_tpt_60_halfLds_dp_op_CI_CI_unitstride_sbrr_R2C_dirReg
; %bb.0:
	s_load_dwordx4 s[8:11], s[4:5], 0x58
	s_load_dwordx4 s[12:15], s[4:5], 0x0
	;; [unrolled: 1-line block ×3, first 2 shown]
	v_mul_u32_u24_e32 v1, 0x445, v0
	v_add_u32_sdwa v5, s6, v1 dst_sel:DWORD dst_unused:UNUSED_PAD src0_sel:DWORD src1_sel:WORD_1
	v_mov_b32_e32 v3, 0
	s_waitcnt lgkmcnt(0)
	v_cmp_lt_u64_e64 s[0:1], s[14:15], 2
	v_mov_b32_e32 v1, 0
	v_mov_b32_e32 v6, v3
	s_and_b64 vcc, exec, s[0:1]
	v_mov_b32_e32 v2, 0
	s_cbranch_vccnz .LBB0_8
; %bb.1:
	s_load_dwordx2 s[0:1], s[4:5], 0x10
	s_add_u32 s2, s18, 8
	s_addc_u32 s3, s19, 0
	s_add_u32 s6, s16, 8
	v_mov_b32_e32 v1, 0
	s_addc_u32 s7, s17, 0
	v_mov_b32_e32 v2, 0
	s_waitcnt lgkmcnt(0)
	s_add_u32 s20, s0, 8
	v_mov_b32_e32 v49, v2
	s_addc_u32 s21, s1, 0
	s_mov_b64 s[22:23], 1
	v_mov_b32_e32 v48, v1
.LBB0_2:                                ; =>This Inner Loop Header: Depth=1
	s_load_dwordx2 s[24:25], s[20:21], 0x0
                                        ; implicit-def: $vgpr50_vgpr51
	s_waitcnt lgkmcnt(0)
	v_or_b32_e32 v4, s25, v6
	v_cmp_ne_u64_e32 vcc, 0, v[3:4]
	s_and_saveexec_b64 s[0:1], vcc
	s_xor_b64 s[26:27], exec, s[0:1]
	s_cbranch_execz .LBB0_4
; %bb.3:                                ;   in Loop: Header=BB0_2 Depth=1
	v_cvt_f32_u32_e32 v4, s24
	v_cvt_f32_u32_e32 v7, s25
	s_sub_u32 s0, 0, s24
	s_subb_u32 s1, 0, s25
	v_mac_f32_e32 v4, 0x4f800000, v7
	v_rcp_f32_e32 v4, v4
	v_mul_f32_e32 v4, 0x5f7ffffc, v4
	v_mul_f32_e32 v7, 0x2f800000, v4
	v_trunc_f32_e32 v7, v7
	v_mac_f32_e32 v4, 0xcf800000, v7
	v_cvt_u32_f32_e32 v7, v7
	v_cvt_u32_f32_e32 v4, v4
	v_mul_lo_u32 v8, s0, v7
	v_mul_hi_u32 v9, s0, v4
	v_mul_lo_u32 v11, s1, v4
	v_mul_lo_u32 v10, s0, v4
	v_add_u32_e32 v8, v9, v8
	v_add_u32_e32 v8, v8, v11
	v_mul_hi_u32 v9, v4, v10
	v_mul_lo_u32 v11, v4, v8
	v_mul_hi_u32 v13, v4, v8
	v_mul_hi_u32 v12, v7, v10
	v_mul_lo_u32 v10, v7, v10
	v_mul_hi_u32 v14, v7, v8
	v_add_co_u32_e32 v9, vcc, v9, v11
	v_addc_co_u32_e32 v11, vcc, 0, v13, vcc
	v_mul_lo_u32 v8, v7, v8
	v_add_co_u32_e32 v9, vcc, v9, v10
	v_addc_co_u32_e32 v9, vcc, v11, v12, vcc
	v_addc_co_u32_e32 v10, vcc, 0, v14, vcc
	v_add_co_u32_e32 v8, vcc, v9, v8
	v_addc_co_u32_e32 v9, vcc, 0, v10, vcc
	v_add_co_u32_e32 v4, vcc, v4, v8
	v_addc_co_u32_e32 v7, vcc, v7, v9, vcc
	v_mul_lo_u32 v8, s0, v7
	v_mul_hi_u32 v9, s0, v4
	v_mul_lo_u32 v10, s1, v4
	v_mul_lo_u32 v11, s0, v4
	v_add_u32_e32 v8, v9, v8
	v_add_u32_e32 v8, v8, v10
	v_mul_lo_u32 v12, v4, v8
	v_mul_hi_u32 v13, v4, v11
	v_mul_hi_u32 v14, v4, v8
	v_mul_hi_u32 v10, v7, v11
	v_mul_lo_u32 v11, v7, v11
	v_mul_hi_u32 v9, v7, v8
	v_add_co_u32_e32 v12, vcc, v13, v12
	v_addc_co_u32_e32 v13, vcc, 0, v14, vcc
	v_mul_lo_u32 v8, v7, v8
	v_add_co_u32_e32 v11, vcc, v12, v11
	v_addc_co_u32_e32 v10, vcc, v13, v10, vcc
	v_addc_co_u32_e32 v9, vcc, 0, v9, vcc
	v_add_co_u32_e32 v8, vcc, v10, v8
	v_addc_co_u32_e32 v9, vcc, 0, v9, vcc
	v_add_co_u32_e32 v4, vcc, v4, v8
	v_addc_co_u32_e32 v9, vcc, v7, v9, vcc
	v_mad_u64_u32 v[7:8], s[0:1], v5, v9, 0
	v_mul_hi_u32 v10, v5, v4
	v_add_co_u32_e32 v11, vcc, v10, v7
	v_addc_co_u32_e32 v12, vcc, 0, v8, vcc
	v_mad_u64_u32 v[7:8], s[0:1], v6, v4, 0
	v_mad_u64_u32 v[9:10], s[0:1], v6, v9, 0
	v_add_co_u32_e32 v4, vcc, v11, v7
	v_addc_co_u32_e32 v4, vcc, v12, v8, vcc
	v_addc_co_u32_e32 v7, vcc, 0, v10, vcc
	v_add_co_u32_e32 v4, vcc, v4, v9
	v_addc_co_u32_e32 v9, vcc, 0, v7, vcc
	v_mul_lo_u32 v10, s25, v4
	v_mul_lo_u32 v11, s24, v9
	v_mad_u64_u32 v[7:8], s[0:1], s24, v4, 0
	v_add3_u32 v8, v8, v11, v10
	v_sub_u32_e32 v10, v6, v8
	v_mov_b32_e32 v11, s25
	v_sub_co_u32_e32 v7, vcc, v5, v7
	v_subb_co_u32_e64 v10, s[0:1], v10, v11, vcc
	v_subrev_co_u32_e64 v11, s[0:1], s24, v7
	v_subbrev_co_u32_e64 v10, s[0:1], 0, v10, s[0:1]
	v_cmp_le_u32_e64 s[0:1], s25, v10
	v_cndmask_b32_e64 v12, 0, -1, s[0:1]
	v_cmp_le_u32_e64 s[0:1], s24, v11
	v_cndmask_b32_e64 v11, 0, -1, s[0:1]
	v_cmp_eq_u32_e64 s[0:1], s25, v10
	v_cndmask_b32_e64 v10, v12, v11, s[0:1]
	v_add_co_u32_e64 v11, s[0:1], 2, v4
	v_addc_co_u32_e64 v12, s[0:1], 0, v9, s[0:1]
	v_add_co_u32_e64 v13, s[0:1], 1, v4
	v_addc_co_u32_e64 v14, s[0:1], 0, v9, s[0:1]
	v_subb_co_u32_e32 v8, vcc, v6, v8, vcc
	v_cmp_ne_u32_e64 s[0:1], 0, v10
	v_cmp_le_u32_e32 vcc, s25, v8
	v_cndmask_b32_e64 v10, v14, v12, s[0:1]
	v_cndmask_b32_e64 v12, 0, -1, vcc
	v_cmp_le_u32_e32 vcc, s24, v7
	v_cndmask_b32_e64 v7, 0, -1, vcc
	v_cmp_eq_u32_e32 vcc, s25, v8
	v_cndmask_b32_e32 v7, v12, v7, vcc
	v_cmp_ne_u32_e32 vcc, 0, v7
	v_cndmask_b32_e64 v7, v13, v11, s[0:1]
	v_cndmask_b32_e32 v51, v9, v10, vcc
	v_cndmask_b32_e32 v50, v4, v7, vcc
.LBB0_4:                                ;   in Loop: Header=BB0_2 Depth=1
	s_andn2_saveexec_b64 s[0:1], s[26:27]
	s_cbranch_execz .LBB0_6
; %bb.5:                                ;   in Loop: Header=BB0_2 Depth=1
	v_cvt_f32_u32_e32 v4, s24
	s_sub_i32 s26, 0, s24
	v_mov_b32_e32 v51, v3
	v_rcp_iflag_f32_e32 v4, v4
	v_mul_f32_e32 v4, 0x4f7ffffe, v4
	v_cvt_u32_f32_e32 v4, v4
	v_mul_lo_u32 v7, s26, v4
	v_mul_hi_u32 v7, v4, v7
	v_add_u32_e32 v4, v4, v7
	v_mul_hi_u32 v4, v5, v4
	v_mul_lo_u32 v7, v4, s24
	v_add_u32_e32 v8, 1, v4
	v_sub_u32_e32 v7, v5, v7
	v_subrev_u32_e32 v9, s24, v7
	v_cmp_le_u32_e32 vcc, s24, v7
	v_cndmask_b32_e32 v7, v7, v9, vcc
	v_cndmask_b32_e32 v4, v4, v8, vcc
	v_add_u32_e32 v8, 1, v4
	v_cmp_le_u32_e32 vcc, s24, v7
	v_cndmask_b32_e32 v50, v4, v8, vcc
.LBB0_6:                                ;   in Loop: Header=BB0_2 Depth=1
	s_or_b64 exec, exec, s[0:1]
	v_mul_lo_u32 v4, v51, s24
	v_mul_lo_u32 v9, v50, s25
	v_mad_u64_u32 v[7:8], s[0:1], v50, s24, 0
	s_load_dwordx2 s[0:1], s[6:7], 0x0
	s_load_dwordx2 s[24:25], s[2:3], 0x0
	v_add3_u32 v4, v8, v9, v4
	v_sub_co_u32_e32 v5, vcc, v5, v7
	v_subb_co_u32_e32 v4, vcc, v6, v4, vcc
	s_waitcnt lgkmcnt(0)
	v_mul_lo_u32 v6, s0, v4
	v_mul_lo_u32 v7, s1, v5
	v_mad_u64_u32 v[1:2], s[0:1], s0, v5, v[1:2]
	v_mul_lo_u32 v4, s24, v4
	v_mul_lo_u32 v8, s25, v5
	v_mad_u64_u32 v[48:49], s[0:1], s24, v5, v[48:49]
	s_add_u32 s22, s22, 1
	s_addc_u32 s23, s23, 0
	s_add_u32 s2, s2, 8
	v_add3_u32 v49, v8, v49, v4
	s_addc_u32 s3, s3, 0
	v_mov_b32_e32 v4, s14
	s_add_u32 s6, s6, 8
	v_mov_b32_e32 v5, s15
	s_addc_u32 s7, s7, 0
	v_cmp_ge_u64_e32 vcc, s[22:23], v[4:5]
	s_add_u32 s20, s20, 8
	v_add3_u32 v2, v7, v2, v6
	s_addc_u32 s21, s21, 0
	s_cbranch_vccnz .LBB0_9
; %bb.7:                                ;   in Loop: Header=BB0_2 Depth=1
	v_mov_b32_e32 v5, v50
	v_mov_b32_e32 v6, v51
	s_branch .LBB0_2
.LBB0_8:
	v_mov_b32_e32 v49, v2
	v_mov_b32_e32 v51, v6
	;; [unrolled: 1-line block ×4, first 2 shown]
.LBB0_9:
	s_load_dwordx2 s[4:5], s[4:5], 0x28
	s_lshl_b64 s[6:7], s[14:15], 3
	s_add_u32 s2, s18, s6
	s_addc_u32 s3, s19, s7
                                        ; implicit-def: $vgpr52
                                        ; implicit-def: $vgpr54
	s_waitcnt lgkmcnt(0)
	v_cmp_gt_u64_e64 s[0:1], s[4:5], v[50:51]
	v_cmp_le_u64_e32 vcc, s[4:5], v[50:51]
	s_and_saveexec_b64 s[4:5], vcc
	s_xor_b64 s[4:5], exec, s[4:5]
; %bb.10:
	s_mov_b32 s14, 0x4444445
	v_mul_hi_u32 v1, v0, s14
	v_mul_u32_u24_e32 v1, 60, v1
	v_sub_u32_e32 v52, v0, v1
	v_add_u32_e32 v54, 60, v52
                                        ; implicit-def: $vgpr0
                                        ; implicit-def: $vgpr1_vgpr2
; %bb.11:
	s_andn2_saveexec_b64 s[4:5], s[4:5]
	s_cbranch_execz .LBB0_13
; %bb.12:
	s_add_u32 s6, s16, s6
	s_addc_u32 s7, s17, s7
	s_load_dwordx2 s[6:7], s[6:7], 0x0
	s_mov_b32 s14, 0x4444445
	v_mul_hi_u32 v5, v0, s14
	s_waitcnt lgkmcnt(0)
	v_mul_lo_u32 v6, s7, v50
	v_mul_lo_u32 v7, s6, v51
	v_mad_u64_u32 v[3:4], s[6:7], s6, v50, 0
	v_mul_u32_u24_e32 v5, 60, v5
	v_sub_u32_e32 v52, v0, v5
	v_add3_u32 v4, v4, v7, v6
	v_lshlrev_b64 v[3:4], 4, v[3:4]
	v_mov_b32_e32 v0, s9
	v_add_co_u32_e32 v3, vcc, s8, v3
	v_addc_co_u32_e32 v4, vcc, v0, v4, vcc
	v_lshlrev_b64 v[0:1], 4, v[1:2]
	v_lshlrev_b32_e32 v44, 4, v52
	v_add_co_u32_e32 v0, vcc, v3, v0
	v_addc_co_u32_e32 v1, vcc, v4, v1, vcc
	v_add_co_u32_e32 v31, vcc, v0, v44
	v_addc_co_u32_e32 v32, vcc, 0, v1, vcc
	s_movk_i32 s6, 0x1000
	v_add_co_u32_e32 v40, vcc, s6, v31
	v_addc_co_u32_e32 v41, vcc, 0, v32, vcc
	v_add_co_u32_e32 v42, vcc, 0x2000, v31
	global_load_dwordx4 v[0:3], v[31:32], off
	global_load_dwordx4 v[4:7], v[31:32], off offset:960
	global_load_dwordx4 v[8:11], v[31:32], off offset:1920
	;; [unrolled: 1-line block ×6, first 2 shown]
	s_nop 0
	global_load_dwordx4 v[28:31], v[40:41], off offset:2624
	v_addc_co_u32_e32 v43, vcc, 0, v32, vcc
	global_load_dwordx4 v[32:35], v[40:41], off offset:3584
	global_load_dwordx4 v[36:39], v[42:43], off offset:448
	v_add_u32_e32 v54, 60, v52
	v_add_u32_e32 v40, 0, v44
	s_waitcnt vmcnt(9)
	ds_write_b128 v40, v[0:3]
	s_waitcnt vmcnt(8)
	ds_write_b128 v40, v[4:7] offset:960
	s_waitcnt vmcnt(7)
	ds_write_b128 v40, v[8:11] offset:1920
	;; [unrolled: 2-line block ×9, first 2 shown]
.LBB0_13:
	s_or_b64 exec, exec, s[4:5]
	v_lshl_add_u32 v56, v52, 4, 0
	s_load_dwordx2 s[2:3], s[2:3], 0x0
	s_waitcnt lgkmcnt(0)
	; wave barrier
	s_waitcnt lgkmcnt(0)
	ds_read_b128 v[0:3], v56 offset:5760
	ds_read_b128 v[4:7], v56 offset:3840
	;; [unrolled: 1-line block ×5, first 2 shown]
	ds_read_b128 v[20:23], v56
	ds_read_b128 v[24:27], v56 offset:7680
	ds_read_b128 v[28:31], v56 offset:960
	;; [unrolled: 1-line block ×3, first 2 shown]
	s_mov_b32 s16, 0x134454ff
	s_waitcnt lgkmcnt(7)
	v_add_f64 v[40:41], v[4:5], v[0:1]
	s_waitcnt lgkmcnt(2)
	v_add_f64 v[44:45], v[18:19], -v[26:27]
	s_mov_b32 s17, 0xbfee6f0e
	v_add_f64 v[46:47], v[6:7], -v[2:3]
	v_add_f64 v[57:58], v[16:17], -v[4:5]
	;; [unrolled: 1-line block ×3, first 2 shown]
	s_mov_b32 s8, 0x4755a5e
	s_mov_b32 s9, 0xbfe2cf23
	v_fma_f64 v[40:41], v[40:41], -0.5, v[20:21]
	s_mov_b32 s5, 0x3fee6f0e
	s_mov_b32 s4, s16
	v_add_f64 v[42:43], v[20:21], v[16:17]
	v_add_f64 v[63:64], v[16:17], v[24:25]
	;; [unrolled: 1-line block ×3, first 2 shown]
	s_mov_b32 s7, 0x3fe2cf23
	s_mov_b32 s6, s8
	v_fma_f64 v[61:62], v[44:45], s[16:17], v[40:41]
	v_fma_f64 v[40:41], v[44:45], s[4:5], v[40:41]
	v_add_f64 v[67:68], v[6:7], v[2:3]
	v_add_f64 v[42:43], v[42:43], v[4:5]
	v_fma_f64 v[20:21], v[63:64], -0.5, v[20:21]
	s_mov_b32 s14, 0x372fe950
	s_mov_b32 s15, 0x3fd3c6ef
	v_add_f64 v[63:64], v[4:5], -v[16:17]
	v_fma_f64 v[59:60], v[46:47], s[8:9], v[61:62]
	v_add_f64 v[61:62], v[22:23], v[18:19]
	v_fma_f64 v[40:41], v[46:47], s[6:7], v[40:41]
	v_add_f64 v[42:43], v[42:43], v[0:1]
	v_add_f64 v[65:66], v[0:1], -v[24:25]
	v_add_f64 v[69:70], v[18:19], v[26:27]
	v_add_f64 v[16:17], v[16:17], -v[24:25]
	v_add_f64 v[0:1], v[4:5], -v[0:1]
	v_fma_f64 v[59:60], v[57:58], s[14:15], v[59:60]
	v_add_f64 v[61:62], v[61:62], v[6:7]
	v_fma_f64 v[40:41], v[57:58], s[14:15], v[40:41]
	v_fma_f64 v[57:58], v[46:47], s[4:5], v[20:21]
	;; [unrolled: 1-line block ×3, first 2 shown]
	v_add_f64 v[63:64], v[63:64], v[65:66]
	v_add_f64 v[65:66], v[18:19], -v[6:7]
	v_fma_f64 v[4:5], v[69:70], -0.5, v[22:23]
	v_add_f64 v[6:7], v[6:7], -v[18:19]
	v_add_f64 v[46:47], v[61:62], v[2:3]
	v_fma_f64 v[61:62], v[67:68], -0.5, v[22:23]
	v_add_f64 v[18:19], v[26:27], -v[2:3]
	v_add_f64 v[22:23], v[42:43], v[24:25]
	v_add_f64 v[2:3], v[2:3], -v[26:27]
	v_fma_f64 v[57:58], v[44:45], s[8:9], v[57:58]
	v_fma_f64 v[20:21], v[44:45], s[6:7], v[20:21]
	ds_read_b128 v[36:39], v56 offset:8640
	v_add_f64 v[26:27], v[46:47], v[26:27]
	v_fma_f64 v[24:25], v[16:17], s[4:5], v[61:62]
	v_fma_f64 v[42:43], v[16:17], s[16:17], v[61:62]
	v_fma_f64 v[46:47], v[0:1], s[16:17], v[4:5]
	v_fma_f64 v[4:5], v[0:1], s[4:5], v[4:5]
	v_add_f64 v[18:19], v[65:66], v[18:19]
	v_add_f64 v[2:3], v[6:7], v[2:3]
	v_fma_f64 v[6:7], v[63:64], s[14:15], v[57:58]
	v_add_f64 v[61:62], v[10:11], -v[14:15]
	v_fma_f64 v[24:25], v[0:1], s[6:7], v[24:25]
	v_fma_f64 v[0:1], v[0:1], s[8:9], v[42:43]
	v_add_f64 v[42:43], v[8:9], v[12:13]
	v_fma_f64 v[44:45], v[16:17], s[6:7], v[46:47]
	v_fma_f64 v[4:5], v[16:17], s[8:9], v[4:5]
	;; [unrolled: 1-line block ×3, first 2 shown]
	s_waitcnt lgkmcnt(0)
	v_add_f64 v[16:17], v[32:33], v[36:37]
	v_add_f64 v[65:66], v[12:13], -v[36:37]
	v_fma_f64 v[57:58], v[18:19], s[14:15], v[24:25]
	v_add_f64 v[24:25], v[34:35], -v[38:39]
	v_fma_f64 v[20:21], v[42:43], -0.5, v[28:29]
	v_fma_f64 v[42:43], v[18:19], s[14:15], v[0:1]
	v_add_f64 v[0:1], v[32:33], -v[8:9]
	v_add_f64 v[18:19], v[36:37], -v[12:13]
	v_fma_f64 v[44:45], v[2:3], s[14:15], v[44:45]
	v_fma_f64 v[16:17], v[16:17], -0.5, v[28:29]
	v_fma_f64 v[63:64], v[2:3], s[14:15], v[4:5]
	v_add_f64 v[69:70], v[34:35], v[38:39]
	v_fma_f64 v[2:3], v[24:25], s[16:17], v[20:21]
	v_fma_f64 v[4:5], v[24:25], s[4:5], v[20:21]
	v_add_f64 v[20:21], v[10:11], v[14:15]
	v_add_f64 v[0:1], v[0:1], v[18:19]
	v_add_f64 v[18:19], v[8:9], -v[32:33]
	v_fma_f64 v[67:68], v[61:62], s[4:5], v[16:17]
	v_fma_f64 v[16:17], v[61:62], s[16:17], v[16:17]
	v_add_f64 v[71:72], v[8:9], -v[12:13]
	v_fma_f64 v[2:3], v[61:62], s[8:9], v[2:3]
	v_fma_f64 v[4:5], v[61:62], s[6:7], v[4:5]
	v_fma_f64 v[20:21], v[20:21], -0.5, v[30:31]
	v_add_f64 v[61:62], v[32:33], -v[36:37]
	v_add_f64 v[18:19], v[18:19], v[65:66]
	v_fma_f64 v[65:66], v[24:25], s[8:9], v[67:68]
	v_fma_f64 v[16:17], v[24:25], s[6:7], v[16:17]
	v_add_f64 v[24:25], v[34:35], -v[10:11]
	v_add_f64 v[67:68], v[38:39], -v[14:15]
	v_fma_f64 v[69:70], v[69:70], -0.5, v[30:31]
	v_add_f64 v[28:29], v[28:29], v[32:33]
	v_fma_f64 v[73:74], v[61:62], s[4:5], v[20:21]
	v_add_f64 v[30:31], v[30:31], v[34:35]
	v_add_f64 v[32:33], v[10:11], -v[34:35]
	v_add_f64 v[34:35], v[14:15], -v[38:39]
	v_fma_f64 v[20:21], v[61:62], s[16:17], v[20:21]
	v_add_f64 v[24:25], v[24:25], v[67:68]
	v_fma_f64 v[2:3], v[0:1], s[14:15], v[2:3]
	v_add_f64 v[8:9], v[28:29], v[8:9]
	v_fma_f64 v[67:68], v[71:72], s[6:7], v[73:74]
	v_fma_f64 v[73:74], v[71:72], s[16:17], v[69:70]
	;; [unrolled: 1-line block ×3, first 2 shown]
	v_add_f64 v[10:11], v[30:31], v[10:11]
	v_fma_f64 v[0:1], v[0:1], s[14:15], v[4:5]
	v_add_f64 v[4:5], v[32:33], v[34:35]
	s_mov_b32 s18, 0x9b97f4a8
	v_add_f64 v[8:9], v[8:9], v[12:13]
	v_fma_f64 v[28:29], v[24:25], s[14:15], v[67:68]
	v_fma_f64 v[30:31], v[61:62], s[6:7], v[73:74]
	;; [unrolled: 1-line block ×4, first 2 shown]
	v_add_f64 v[10:11], v[10:11], v[14:15]
	v_fma_f64 v[14:15], v[18:19], s[14:15], v[65:66]
	v_fma_f64 v[18:19], v[18:19], s[14:15], v[16:17]
	s_mov_b32 s19, 0x3fe9e377
	v_mul_f64 v[16:17], v[28:29], s[8:9]
	v_fma_f64 v[20:21], v[4:5], s[14:15], v[30:31]
	v_fma_f64 v[4:5], v[4:5], s[14:15], v[32:33]
	;; [unrolled: 1-line block ×3, first 2 shown]
	v_add_f64 v[8:9], v[8:9], v[36:37]
	v_add_f64 v[10:11], v[10:11], v[38:39]
	s_waitcnt lgkmcnt(0)
	; wave barrier
	v_fma_f64 v[30:31], v[2:3], s[18:19], v[16:17]
	v_mul_f64 v[2:3], v[2:3], s[6:7]
	v_mul_f64 v[16:17], v[20:21], s[16:17]
	;; [unrolled: 1-line block ×3, first 2 shown]
	s_mov_b32 s17, 0xbfd3c6ef
	s_mov_b32 s16, s14
	v_mul_f64 v[20:21], v[20:21], s[14:15]
	v_mul_f64 v[32:33], v[12:13], s[8:9]
	s_mov_b32 s9, 0xbfe9e377
	s_mov_b32 s8, s18
	v_mul_f64 v[4:5], v[4:5], s[16:17]
	v_mul_f64 v[12:13], v[12:13], s[8:9]
	v_fma_f64 v[2:3], v[28:29], s[18:19], v[2:3]
	v_fma_f64 v[34:35], v[14:15], s[14:15], v[16:17]
	;; [unrolled: 1-line block ×5, first 2 shown]
	v_add_f64 v[16:17], v[22:23], v[8:9]
	v_fma_f64 v[67:68], v[18:19], s[4:5], v[4:5]
	v_fma_f64 v[69:70], v[0:1], s[6:7], v[12:13]
	v_add_f64 v[18:19], v[26:27], v[10:11]
	v_add_f64 v[20:21], v[59:60], v[30:31]
	v_add_f64 v[24:25], v[22:23], -v[8:9]
	v_add_f64 v[22:23], v[57:58], v[2:3]
	v_add_f64 v[28:29], v[6:7], v[34:35]
	v_add_f64 v[0:1], v[59:60], -v[30:31]
	;; [unrolled: 3-line block ×3, first 2 shown]
	v_add_f64 v[34:35], v[63:64], v[67:68]
	v_add_f64 v[36:37], v[40:41], v[65:66]
	;; [unrolled: 1-line block ×3, first 2 shown]
	v_add_f64 v[26:27], v[26:27], -v[10:11]
	v_add_f64 v[2:3], v[57:58], -v[2:3]
	s_movk_i32 s4, 0x90
	v_add_f64 v[6:7], v[44:45], -v[14:15]
	v_add_f64 v[12:13], v[40:41], -v[65:66]
	v_mad_u32_u24 v40, v52, s4, v56
	v_add_f64 v[8:9], v[46:47], -v[61:62]
	v_add_f64 v[10:11], v[63:64], -v[67:68]
	v_add_f64 v[14:15], v[42:43], -v[69:70]
	ds_write_b128 v40, v[16:19]
	ds_write_b128 v40, v[20:23] offset:16
	ds_write_b128 v40, v[28:31] offset:32
	;; [unrolled: 1-line block ×9, first 2 shown]
	s_waitcnt lgkmcnt(0)
	; wave barrier
	s_waitcnt lgkmcnt(0)
	ds_read_b128 v[24:27], v56
	ds_read_b128 v[44:47], v56 offset:1600
	ds_read_b128 v[40:43], v56 offset:3200
	;; [unrolled: 1-line block ×5, first 2 shown]
	v_cmp_gt_u32_e32 vcc, 40, v52
	v_lshl_add_u32 v57, v54, 4, 0
                                        ; implicit-def: $vgpr22_vgpr23
                                        ; implicit-def: $vgpr18_vgpr19
	s_and_saveexec_b64 s[4:5], vcc
	s_cbranch_execz .LBB0_15
; %bb.14:
	ds_read_b128 v[4:7], v56 offset:2560
	ds_read_b128 v[8:11], v56 offset:4160
	;; [unrolled: 1-line block ×4, first 2 shown]
	ds_read_b128 v[0:3], v57
	ds_read_b128 v[20:23], v56 offset:8960
.LBB0_15:
	s_or_b64 exec, exec, s[4:5]
	s_movk_i32 s14, 0xcd
	v_mul_lo_u16_sdwa v53, v52, s14 dst_sel:DWORD dst_unused:UNUSED_PAD src0_sel:BYTE_0 src1_sel:DWORD
	v_lshrrev_b16_e32 v55, 11, v53
	v_mul_lo_u16_e32 v53, 10, v55
	v_sub_u16_e32 v76, v52, v53
	v_mov_b32_e32 v53, 5
	v_mul_u32_u24_sdwa v58, v76, v53 dst_sel:DWORD dst_unused:UNUSED_PAD src0_sel:BYTE_0 src1_sel:DWORD
	v_lshlrev_b32_e32 v77, 4, v58
	global_load_dwordx4 v[58:61], v77, s[12:13] offset:48
	global_load_dwordx4 v[62:65], v77, s[12:13] offset:32
	;; [unrolled: 1-line block ×3, first 2 shown]
	global_load_dwordx4 v[70:73], v77, s[12:13]
	s_mov_b32 s4, 0xe8584caa
	s_mov_b32 s5, 0xbfebb67a
	s_mov_b32 s7, 0x3febb67a
	s_mov_b32 s6, s4
	s_waitcnt vmcnt(0) lgkmcnt(4)
	v_mul_f64 v[74:75], v[46:47], v[72:73]
	v_fma_f64 v[74:75], v[44:45], v[70:71], v[74:75]
	v_mul_f64 v[44:45], v[44:45], v[72:73]
	v_fma_f64 v[44:45], v[46:47], v[70:71], -v[44:45]
	s_waitcnt lgkmcnt(3)
	v_mul_f64 v[46:47], v[42:43], v[68:69]
	v_fma_f64 v[46:47], v[40:41], v[66:67], v[46:47]
	v_mul_f64 v[40:41], v[40:41], v[68:69]
	v_fma_f64 v[40:41], v[42:43], v[66:67], -v[40:41]
	s_waitcnt lgkmcnt(2)
	;; [unrolled: 5-line block ×3, first 2 shown]
	v_mul_f64 v[38:39], v[34:35], v[60:61]
	v_fma_f64 v[38:39], v[32:33], v[58:59], v[38:39]
	v_mul_f64 v[32:33], v[32:33], v[60:61]
	v_fma_f64 v[58:59], v[34:35], v[58:59], -v[32:33]
	global_load_dwordx4 v[32:35], v77, s[12:13] offset:64
	s_waitcnt lgkmcnt(0)
	; wave barrier
	s_waitcnt vmcnt(0) lgkmcnt(0)
	v_mul_f64 v[60:61], v[30:31], v[34:35]
	v_fma_f64 v[60:61], v[28:29], v[32:33], v[60:61]
	v_mul_f64 v[28:29], v[28:29], v[34:35]
	v_fma_f64 v[28:29], v[30:31], v[32:33], -v[28:29]
	v_add_f64 v[30:31], v[24:25], v[46:47]
	v_add_f64 v[62:63], v[30:31], v[38:39]
	;; [unrolled: 1-line block ×3, first 2 shown]
	v_fma_f64 v[24:25], v[30:31], -0.5, v[24:25]
	v_add_f64 v[30:31], v[40:41], -v[58:59]
	v_fma_f64 v[64:65], v[30:31], s[4:5], v[24:25]
	v_fma_f64 v[66:67], v[30:31], s[6:7], v[24:25]
	v_add_f64 v[24:25], v[26:27], v[40:41]
	v_add_f64 v[68:69], v[24:25], v[58:59]
	;; [unrolled: 1-line block ×3, first 2 shown]
	v_fma_f64 v[24:25], v[24:25], -0.5, v[26:27]
	v_add_f64 v[26:27], v[46:47], -v[38:39]
	v_fma_f64 v[46:47], v[26:27], s[6:7], v[24:25]
	v_fma_f64 v[70:71], v[26:27], s[4:5], v[24:25]
	v_add_f64 v[24:25], v[74:75], v[42:43]
	v_add_f64 v[26:27], v[36:37], -v[28:29]
	v_add_f64 v[38:39], v[24:25], v[60:61]
	v_add_f64 v[24:25], v[42:43], v[60:61]
	v_fma_f64 v[24:25], v[24:25], -0.5, v[74:75]
	v_fma_f64 v[31:32], v[26:27], s[4:5], v[24:25]
	v_fma_f64 v[40:41], v[26:27], s[6:7], v[24:25]
	v_add_f64 v[24:25], v[44:45], v[36:37]
	v_add_f64 v[26:27], v[42:43], -v[60:61]
	v_add_f64 v[72:73], v[24:25], v[28:29]
	v_add_f64 v[24:25], v[36:37], v[28:29]
	v_fma_f64 v[24:25], v[24:25], -0.5, v[44:45]
	v_fma_f64 v[35:36], v[26:27], s[6:7], v[24:25]
	v_fma_f64 v[42:43], v[26:27], s[4:5], v[24:25]
	v_add_f64 v[25:26], v[62:63], v[38:39]
	v_add_f64 v[37:38], v[62:63], -v[38:39]
	v_mov_b32_e32 v24, 4
	v_mul_f64 v[27:28], v[35:36], s[4:5]
	v_mul_f64 v[35:36], v[35:36], 0.5
	v_fma_f64 v[44:45], v[31:32], 0.5, v[27:28]
	v_mul_f64 v[27:28], v[42:43], s[4:5]
	v_fma_f64 v[60:61], v[31:32], s[6:7], v[35:36]
	v_mul_f64 v[35:36], v[42:43], -0.5
	v_add_f64 v[29:30], v[64:65], v[44:45]
	v_fma_f64 v[58:59], v[40:41], -0.5, v[27:28]
	v_add_f64 v[27:28], v[68:69], v[72:73]
	v_fma_f64 v[74:75], v[40:41], s[6:7], v[35:36]
	v_add_f64 v[31:32], v[46:47], v[60:61]
	v_add_f64 v[39:40], v[68:69], -v[72:73]
	v_add_f64 v[41:42], v[64:65], -v[44:45]
	;; [unrolled: 1-line block ×3, first 2 shown]
	v_mul_u32_u24_e32 v45, 0x3c0, v55
	v_add_f64 v[33:34], v[66:67], v[58:59]
	v_add_f64 v[58:59], v[66:67], -v[58:59]
	v_add_f64 v[35:36], v[70:71], v[74:75]
	v_add_f64 v[60:61], v[70:71], -v[74:75]
	v_lshlrev_b32_sdwa v46, v24, v76 dst_sel:DWORD dst_unused:UNUSED_PAD src0_sel:DWORD src1_sel:BYTE_0
	v_add3_u32 v45, 0, v45, v46
	ds_write_b128 v45, v[25:28]
	ds_write_b128 v45, v[29:32] offset:160
	ds_write_b128 v45, v[33:36] offset:320
	;; [unrolled: 1-line block ×5, first 2 shown]
	s_and_saveexec_b64 s[8:9], vcc
	s_cbranch_execz .LBB0_17
; %bb.16:
	v_mul_lo_u16_sdwa v25, v54, s14 dst_sel:DWORD dst_unused:UNUSED_PAD src0_sel:BYTE_0 src1_sel:DWORD
	v_lshrrev_b16_e32 v47, 11, v25
	v_mul_lo_u16_e32 v25, 10, v47
	v_sub_u16_e32 v55, v54, v25
	v_mul_u32_u24_sdwa v25, v55, v53 dst_sel:DWORD dst_unused:UNUSED_PAD src0_sel:BYTE_0 src1_sel:DWORD
	v_lshlrev_b32_e32 v45, 4, v25
	global_load_dwordx4 v[25:28], v45, s[12:13] offset:16
	global_load_dwordx4 v[29:32], v45, s[12:13] offset:48
	;; [unrolled: 1-line block ×4, first 2 shown]
	global_load_dwordx4 v[41:44], v45, s[12:13]
	v_lshlrev_b32_sdwa v24, v24, v55 dst_sel:DWORD dst_unused:UNUSED_PAD src0_sel:DWORD src1_sel:BYTE_0
	s_waitcnt vmcnt(4)
	v_mul_f64 v[45:46], v[8:9], v[27:28]
	s_waitcnt vmcnt(3)
	v_mul_f64 v[58:59], v[16:17], v[31:32]
	;; [unrolled: 2-line block ×4, first 2 shown]
	v_mul_f64 v[27:28], v[10:11], v[27:28]
	s_waitcnt vmcnt(0)
	v_mul_f64 v[64:65], v[6:7], v[43:44]
	v_mul_f64 v[35:36], v[14:15], v[35:36]
	;; [unrolled: 1-line block ×5, first 2 shown]
	v_fma_f64 v[14:15], v[14:15], v[33:34], -v[60:61]
	v_fma_f64 v[22:23], v[22:23], v[37:38], -v[62:63]
	;; [unrolled: 1-line block ×4, first 2 shown]
	v_fma_f64 v[8:9], v[8:9], v[25:26], v[27:28]
	v_fma_f64 v[12:13], v[12:13], v[33:34], v[35:36]
	;; [unrolled: 1-line block ×3, first 2 shown]
	v_fma_f64 v[6:7], v[6:7], v[41:42], -v[43:44]
	v_fma_f64 v[16:17], v[16:17], v[29:30], v[31:32]
	v_add_f64 v[25:26], v[14:15], v[22:23]
	v_fma_f64 v[4:5], v[4:5], v[41:42], v[64:65]
	v_add_f64 v[27:28], v[10:11], v[18:19]
	v_add_f64 v[31:32], v[14:15], -v[22:23]
	v_add_f64 v[37:38], v[2:3], v[10:11]
	v_add_f64 v[33:34], v[12:13], v[20:21]
	v_add_f64 v[35:36], v[12:13], -v[20:21]
	v_add_f64 v[14:15], v[6:7], v[14:15]
	v_fma_f64 v[6:7], v[25:26], -0.5, v[6:7]
	v_add_f64 v[29:30], v[8:9], -v[16:17]
	v_add_f64 v[25:26], v[8:9], v[16:17]
	v_add_f64 v[8:9], v[0:1], v[8:9]
	;; [unrolled: 1-line block ×3, first 2 shown]
	v_fma_f64 v[2:3], v[27:28], -0.5, v[2:3]
	v_fma_f64 v[4:5], v[33:34], -0.5, v[4:5]
	v_add_f64 v[10:11], v[10:11], -v[18:19]
	v_fma_f64 v[27:28], v[35:36], s[4:5], v[6:7]
	v_fma_f64 v[6:7], v[35:36], s[6:7], v[6:7]
	v_add_f64 v[14:15], v[14:15], v[22:23]
	v_fma_f64 v[0:1], v[25:26], -0.5, v[0:1]
	v_add_f64 v[8:9], v[8:9], v[16:17]
	v_add_f64 v[12:13], v[12:13], v[20:21]
	v_fma_f64 v[16:17], v[31:32], s[6:7], v[4:5]
	v_fma_f64 v[4:5], v[31:32], s[4:5], v[4:5]
	v_mul_f64 v[20:21], v[27:28], -0.5
	v_mul_f64 v[22:23], v[6:7], 0.5
	v_mul_f64 v[6:7], v[6:7], s[4:5]
	v_mul_f64 v[27:28], v[27:28], s[4:5]
	v_add_f64 v[18:19], v[37:38], v[18:19]
	v_fma_f64 v[25:26], v[29:30], s[4:5], v[2:3]
	v_fma_f64 v[29:30], v[29:30], s[6:7], v[2:3]
	;; [unrolled: 1-line block ×5, first 2 shown]
	v_fma_f64 v[35:36], v[4:5], 0.5, v[6:7]
	v_fma_f64 v[31:32], v[10:11], s[6:7], v[0:1]
	v_fma_f64 v[27:28], v[16:17], -0.5, v[27:28]
	v_add_f64 v[6:7], v[18:19], v[14:15]
	v_add_f64 v[4:5], v[8:9], v[12:13]
	v_add_f64 v[2:3], v[18:19], -v[14:15]
	v_add_f64 v[0:1], v[8:9], -v[12:13]
	;; [unrolled: 1-line block ×4, first 2 shown]
	v_add_f64 v[18:19], v[25:26], v[20:21]
	v_add_f64 v[22:23], v[29:30], v[22:23]
	;; [unrolled: 1-line block ×4, first 2 shown]
	v_add_f64 v[12:13], v[33:34], -v[35:36]
	v_add_f64 v[8:9], v[31:32], -v[27:28]
	v_mul_u32_u24_e32 v39, 0x3c0, v47
	v_add3_u32 v24, 0, v39, v24
	ds_write_b128 v24, v[4:7]
	ds_write_b128 v24, v[0:3] offset:480
	ds_write_b128 v24, v[20:23] offset:160
	;; [unrolled: 1-line block ×5, first 2 shown]
.LBB0_17:
	s_or_b64 exec, exec, s[8:9]
	v_mul_u32_u24_e32 v8, 9, v52
	v_lshlrev_b32_e32 v53, 4, v8
	s_waitcnt lgkmcnt(0)
	; wave barrier
	s_waitcnt lgkmcnt(0)
	ds_read_b128 v[0:3], v56
	ds_read_b128 v[4:7], v57
	ds_read_b128 v[10:13], v56 offset:1920
	ds_read_b128 v[14:17], v56 offset:2880
	;; [unrolled: 1-line block ×8, first 2 shown]
	global_load_dwordx4 v[44:47], v53, s[12:13] offset:848
	global_load_dwordx4 v[58:61], v53, s[12:13] offset:832
	;; [unrolled: 1-line block ×4, first 2 shown]
	s_mov_b32 s16, 0x134454ff
	s_mov_b32 s17, 0xbfee6f0e
	;; [unrolled: 1-line block ×10, first 2 shown]
	v_cmp_ne_u32_e32 vcc, 0, v52
	s_waitcnt vmcnt(0) lgkmcnt(8)
	v_mul_f64 v[8:9], v[6:7], v[68:69]
	v_fma_f64 v[26:27], v[4:5], v[66:67], v[8:9]
	v_mul_f64 v[4:5], v[4:5], v[68:69]
	v_fma_f64 v[8:9], v[6:7], v[66:67], -v[4:5]
	s_waitcnt lgkmcnt(7)
	v_mul_f64 v[4:5], v[12:13], v[64:65]
	s_waitcnt lgkmcnt(5)
	v_mul_f64 v[6:7], v[20:21], v[46:47]
	v_fma_f64 v[66:67], v[10:11], v[62:63], v[4:5]
	v_mul_f64 v[4:5], v[10:11], v[64:65]
	v_fma_f64 v[64:65], v[18:19], v[44:45], v[6:7]
	v_mul_f64 v[6:7], v[18:19], v[46:47]
	v_fma_f64 v[62:63], v[12:13], v[62:63], -v[4:5]
	v_mul_f64 v[4:5], v[16:17], v[60:61]
	v_fma_f64 v[68:69], v[20:21], v[44:45], -v[6:7]
	v_fma_f64 v[10:11], v[14:15], v[58:59], v[4:5]
	v_mul_f64 v[4:5], v[14:15], v[60:61]
	v_fma_f64 v[4:5], v[16:17], v[58:59], -v[4:5]
	global_load_dwordx4 v[16:19], v53, s[12:13] offset:912
	global_load_dwordx4 v[44:47], v53, s[12:13] offset:896
	global_load_dwordx4 v[58:61], v53, s[12:13] offset:880
	global_load_dwordx4 v[12:15], v53, s[12:13] offset:864
	s_waitcnt vmcnt(0) lgkmcnt(4)
	v_mul_f64 v[6:7], v[24:25], v[14:15]
	v_fma_f64 v[20:21], v[22:23], v[12:13], v[6:7]
	v_mul_f64 v[6:7], v[22:23], v[14:15]
	v_fma_f64 v[12:13], v[24:25], v[12:13], -v[6:7]
	s_waitcnt lgkmcnt(3)
	v_mul_f64 v[6:7], v[30:31], v[60:61]
	v_fma_f64 v[70:71], v[28:29], v[58:59], v[6:7]
	v_mul_f64 v[6:7], v[28:29], v[60:61]
	v_add_f64 v[60:61], v[10:11], -v[20:21]
	v_fma_f64 v[28:29], v[30:31], v[58:59], -v[6:7]
	s_waitcnt lgkmcnt(2)
	v_mul_f64 v[6:7], v[34:35], v[46:47]
	v_fma_f64 v[24:25], v[32:33], v[44:45], v[6:7]
	v_mul_f64 v[6:7], v[32:33], v[46:47]
	v_add_f64 v[46:47], v[62:63], -v[68:69]
	;; [unrolled: 6-line block ×3, first 2 shown]
	v_fma_f64 v[32:33], v[38:39], v[16:17], -v[6:7]
	global_load_dwordx4 v[16:19], v53, s[12:13] offset:928
	v_add_f64 v[38:39], v[68:69], -v[28:29]
	s_waitcnt lgkmcnt(0)
	; wave barrier
	s_waitcnt lgkmcnt(0)
	v_add_f64 v[36:37], v[62:63], -v[32:33]
	v_add_f64 v[58:59], v[32:33], -v[28:29]
	v_add_f64 v[46:47], v[46:47], v[58:59]
	v_add_f64 v[58:59], v[68:69], -v[62:63]
	s_waitcnt vmcnt(0)
	v_mul_f64 v[6:7], v[42:43], v[18:19]
	v_fma_f64 v[34:35], v[40:41], v[16:17], v[6:7]
	v_mul_f64 v[6:7], v[40:41], v[18:19]
	v_add_f64 v[40:41], v[66:67], -v[64:65]
	v_fma_f64 v[22:23], v[42:43], v[16:17], -v[6:7]
	v_add_f64 v[16:17], v[64:65], v[70:71]
	v_add_f64 v[42:43], v[30:31], -v[70:71]
	v_add_f64 v[6:7], v[0:1], v[66:67]
	v_fma_f64 v[18:19], v[16:17], -0.5, v[0:1]
	v_add_f64 v[40:41], v[40:41], v[42:43]
	v_add_f64 v[42:43], v[64:65], -v[66:67]
	v_add_f64 v[6:7], v[6:7], v[64:65]
	v_fma_f64 v[16:17], v[36:37], s[16:17], v[18:19]
	v_fma_f64 v[18:19], v[36:37], s[8:9], v[18:19]
	v_add_f64 v[42:43], v[42:43], v[44:45]
	v_add_f64 v[6:7], v[6:7], v[70:71]
	v_add_f64 v[44:45], v[64:65], -v[70:71]
	v_add_f64 v[64:65], v[24:25], -v[34:35]
	v_fma_f64 v[16:17], v[38:39], s[14:15], v[16:17]
	v_fma_f64 v[18:19], v[38:39], s[4:5], v[18:19]
	v_add_f64 v[6:7], v[6:7], v[30:31]
	v_fma_f64 v[16:17], v[40:41], s[6:7], v[16:17]
	v_fma_f64 v[18:19], v[40:41], s[6:7], v[18:19]
	v_add_f64 v[40:41], v[66:67], v[30:31]
	v_add_f64 v[30:31], v[66:67], -v[30:31]
	v_fma_f64 v[0:1], v[40:41], -0.5, v[0:1]
	v_fma_f64 v[40:41], v[38:39], s[8:9], v[0:1]
	v_fma_f64 v[0:1], v[38:39], s[16:17], v[0:1]
	v_fma_f64 v[40:41], v[36:37], s[14:15], v[40:41]
	v_fma_f64 v[0:1], v[36:37], s[4:5], v[0:1]
	v_fma_f64 v[40:41], v[42:43], s[6:7], v[40:41]
	v_fma_f64 v[36:37], v[42:43], s[6:7], v[0:1]
	v_add_f64 v[0:1], v[2:3], v[62:63]
	v_add_f64 v[0:1], v[0:1], v[68:69]
	;; [unrolled: 1-line block ×5, first 2 shown]
	v_add_f64 v[28:29], v[28:29], -v[32:33]
	v_fma_f64 v[0:1], v[0:1], -0.5, v[2:3]
	v_add_f64 v[28:29], v[58:59], v[28:29]
	v_fma_f64 v[42:43], v[30:31], s[8:9], v[0:1]
	v_fma_f64 v[0:1], v[30:31], s[16:17], v[0:1]
	v_fma_f64 v[42:43], v[44:45], s[4:5], v[42:43]
	v_fma_f64 v[0:1], v[44:45], s[14:15], v[0:1]
	v_fma_f64 v[42:43], v[46:47], s[6:7], v[42:43]
	v_fma_f64 v[46:47], v[46:47], s[6:7], v[0:1]
	v_add_f64 v[0:1], v[62:63], v[32:33]
	v_add_f64 v[32:33], v[12:13], -v[14:15]
	v_add_f64 v[62:63], v[34:35], -v[24:25]
	v_fma_f64 v[0:1], v[0:1], -0.5, v[2:3]
	v_add_f64 v[60:61], v[60:61], v[62:63]
	v_add_f64 v[62:63], v[20:21], -v[10:11]
	v_fma_f64 v[2:3], v[44:45], s[16:17], v[0:1]
	v_fma_f64 v[0:1], v[44:45], s[8:9], v[0:1]
	v_add_f64 v[62:63], v[62:63], v[64:65]
	v_fma_f64 v[2:3], v[30:31], s[4:5], v[2:3]
	v_fma_f64 v[0:1], v[30:31], s[14:15], v[0:1]
	;; [unrolled: 1-line block ×4, first 2 shown]
	v_add_f64 v[0:1], v[26:27], v[10:11]
	v_add_f64 v[2:3], v[4:5], -v[22:23]
	v_add_f64 v[0:1], v[0:1], v[20:21]
	v_add_f64 v[0:1], v[0:1], v[24:25]
	v_add_f64 v[28:29], v[0:1], v[34:35]
	v_add_f64 v[0:1], v[20:21], v[24:25]
	v_add_f64 v[20:21], v[20:21], -v[24:25]
	v_add_f64 v[24:25], v[4:5], -v[12:13]
	v_fma_f64 v[0:1], v[0:1], -0.5, v[26:27]
	v_fma_f64 v[30:31], v[2:3], s[16:17], v[0:1]
	v_fma_f64 v[0:1], v[2:3], s[8:9], v[0:1]
	;; [unrolled: 1-line block ×6, first 2 shown]
	v_add_f64 v[0:1], v[10:11], v[34:35]
	v_fma_f64 v[0:1], v[0:1], -0.5, v[26:27]
	v_fma_f64 v[26:27], v[32:33], s[8:9], v[0:1]
	v_fma_f64 v[0:1], v[32:33], s[16:17], v[0:1]
	;; [unrolled: 1-line block ×4, first 2 shown]
	v_add_f64 v[2:3], v[10:11], -v[34:35]
	v_add_f64 v[34:35], v[22:23], -v[14:15]
	v_fma_f64 v[26:27], v[62:63], s[6:7], v[26:27]
	v_fma_f64 v[32:33], v[62:63], s[6:7], v[0:1]
	v_add_f64 v[0:1], v[8:9], v[4:5]
	v_add_f64 v[24:25], v[24:25], v[34:35]
	v_add_f64 v[0:1], v[0:1], v[12:13]
	v_add_f64 v[0:1], v[0:1], v[14:15]
	v_add_f64 v[62:63], v[0:1], v[22:23]
	v_add_f64 v[0:1], v[12:13], v[14:15]
	v_fma_f64 v[0:1], v[0:1], -0.5, v[8:9]
	v_fma_f64 v[10:11], v[2:3], s[8:9], v[0:1]
	v_fma_f64 v[0:1], v[2:3], s[16:17], v[0:1]
	;; [unrolled: 1-line block ×6, first 2 shown]
	v_add_f64 v[0:1], v[4:5], v[22:23]
	v_add_f64 v[4:5], v[12:13], -v[4:5]
	v_add_f64 v[12:13], v[14:15], -v[22:23]
	v_fma_f64 v[0:1], v[0:1], -0.5, v[8:9]
	v_add_f64 v[4:5], v[4:5], v[12:13]
	v_fma_f64 v[8:9], v[20:21], s[16:17], v[0:1]
	v_fma_f64 v[0:1], v[20:21], s[8:9], v[0:1]
	;; [unrolled: 1-line block ×4, first 2 shown]
	v_mul_f64 v[2:3], v[10:11], s[14:15]
	v_mul_f64 v[10:11], v[10:11], s[18:19]
	v_fma_f64 v[14:15], v[4:5], s[6:7], v[8:9]
	v_fma_f64 v[4:5], v[4:5], s[6:7], v[0:1]
	;; [unrolled: 1-line block ×4, first 2 shown]
	v_add_f64 v[0:1], v[6:7], v[28:29]
	v_mul_f64 v[2:3], v[14:15], s[16:17]
	v_mul_f64 v[14:15], v[14:15], s[6:7]
	v_add_f64 v[8:9], v[16:17], v[64:65]
	v_add_f64 v[10:11], v[42:43], v[30:31]
	v_add_f64 v[16:17], v[16:17], -v[64:65]
	v_fma_f64 v[66:67], v[26:27], s[6:7], v[2:3]
	v_mul_f64 v[2:3], v[4:5], s[16:17]
	s_mov_b32 s17, 0xbfd3c6ef
	s_mov_b32 s16, s6
	v_mul_f64 v[4:5], v[4:5], s[16:17]
	v_fma_f64 v[72:73], v[26:27], s[8:9], v[14:15]
	s_add_u32 s6, s12, 0x24e0
	s_addc_u32 s7, s13, 0
	v_add_f64 v[12:13], v[40:41], v[66:67]
	v_fma_f64 v[68:69], v[32:33], s[16:17], v[2:3]
	v_mul_f64 v[2:3], v[34:35], s[14:15]
	s_mov_b32 s15, 0xbfe9e377
	s_mov_b32 s14, s18
	v_fma_f64 v[74:75], v[32:33], s[8:9], v[4:5]
	v_mul_f64 v[4:5], v[34:35], s[14:15]
	v_add_f64 v[14:15], v[58:59], v[72:73]
	v_add_f64 v[20:21], v[36:37], v[68:69]
	v_fma_f64 v[70:71], v[60:61], s[14:15], v[2:3]
	v_add_f64 v[2:3], v[38:39], v[62:63]
	v_add_f64 v[32:33], v[36:37], -v[68:69]
	v_add_f64 v[22:23], v[44:45], v[74:75]
	v_fma_f64 v[60:61], v[60:61], s[4:5], v[4:5]
	v_add_f64 v[4:5], v[6:7], -v[28:29]
	v_add_f64 v[6:7], v[38:39], -v[62:63]
	;; [unrolled: 1-line block ×3, first 2 shown]
	v_add_f64 v[24:25], v[18:19], v[70:71]
	v_add_f64 v[36:37], v[18:19], -v[70:71]
	v_add_f64 v[18:19], v[42:43], -v[30:31]
	;; [unrolled: 1-line block ×3, first 2 shown]
	v_add_f64 v[26:27], v[46:47], v[60:61]
	v_add_f64 v[34:35], v[44:45], -v[74:75]
	v_add_f64 v[38:39], v[46:47], -v[60:61]
	ds_write_b128 v56, v[0:3]
	ds_write_b128 v56, v[8:11] offset:960
	ds_write_b128 v56, v[12:15] offset:1920
	;; [unrolled: 1-line block ×9, first 2 shown]
	s_waitcnt lgkmcnt(0)
	; wave barrier
	s_waitcnt lgkmcnt(0)
	ds_read_b128 v[4:7], v56
	v_lshlrev_b32_e32 v0, 4, v52
	v_sub_u32_e32 v14, 0, v0
                                        ; implicit-def: $vgpr0_vgpr1
                                        ; implicit-def: $vgpr8_vgpr9
                                        ; implicit-def: $vgpr10_vgpr11
                                        ; implicit-def: $vgpr12_vgpr13
	s_and_saveexec_b64 s[4:5], vcc
	s_xor_b64 s[4:5], exec, s[4:5]
	s_cbranch_execz .LBB0_19
; %bb.18:
	v_mov_b32_e32 v53, 0
	v_lshlrev_b64 v[0:1], 4, v[52:53]
	v_mov_b32_e32 v2, s7
	v_add_co_u32_e32 v0, vcc, s6, v0
	v_addc_co_u32_e32 v1, vcc, v2, v1, vcc
	global_load_dwordx4 v[15:18], v[0:1], off
	ds_read_b128 v[0:3], v14 offset:9600
	s_waitcnt lgkmcnt(0)
	v_add_f64 v[8:9], v[4:5], -v[0:1]
	v_add_f64 v[10:11], v[6:7], v[2:3]
	v_add_f64 v[2:3], v[6:7], -v[2:3]
	v_add_f64 v[0:1], v[4:5], v[0:1]
	v_mul_f64 v[6:7], v[8:9], 0.5
	v_mul_f64 v[4:5], v[10:11], 0.5
	;; [unrolled: 1-line block ×3, first 2 shown]
	s_waitcnt vmcnt(0)
	v_mul_f64 v[8:9], v[6:7], v[17:18]
	v_fma_f64 v[10:11], v[4:5], v[17:18], v[2:3]
	v_fma_f64 v[2:3], v[4:5], v[17:18], -v[2:3]
	v_fma_f64 v[12:13], v[0:1], 0.5, v[8:9]
	v_fma_f64 v[0:1], v[0:1], 0.5, -v[8:9]
	v_fma_f64 v[10:11], -v[15:16], v[6:7], v[10:11]
	v_fma_f64 v[2:3], -v[15:16], v[6:7], v[2:3]
	v_fma_f64 v[8:9], v[4:5], v[15:16], v[12:13]
	v_mov_b32_e32 v12, v52
	v_fma_f64 v[0:1], -v[4:5], v[15:16], v[0:1]
	v_mov_b32_e32 v13, v53
                                        ; implicit-def: $vgpr4_vgpr5
.LBB0_19:
	s_andn2_saveexec_b64 s[4:5], s[4:5]
	s_cbranch_execz .LBB0_21
; %bb.20:
	s_waitcnt lgkmcnt(0)
	v_add_f64 v[8:9], v[4:5], v[6:7]
	v_add_f64 v[0:1], v[4:5], -v[6:7]
	v_mov_b32_e32 v4, 0
	ds_read_b64 v[2:3], v4 offset:4808
	v_mov_b32_e32 v10, 0
	v_mov_b32_e32 v12, 0
	;; [unrolled: 1-line block ×4, first 2 shown]
	s_waitcnt lgkmcnt(0)
	v_xor_b32_e32 v3, 0x80000000, v3
	ds_write_b64 v4, v[2:3] offset:4808
	v_mov_b32_e32 v2, v10
	v_mov_b32_e32 v3, v11
.LBB0_21:
	s_or_b64 exec, exec, s[4:5]
	v_mov_b32_e32 v55, 0
	s_waitcnt lgkmcnt(0)
	v_lshlrev_b64 v[4:5], 4, v[54:55]
	v_mov_b32_e32 v6, s7
	v_add_co_u32_e32 v4, vcc, s6, v4
	v_addc_co_u32_e32 v5, vcc, v6, v5, vcc
	global_load_dwordx4 v[4:7], v[4:5], off
	v_lshlrev_b64 v[12:13], 4, v[12:13]
	v_mov_b32_e32 v15, s7
	v_add_co_u32_e32 v12, vcc, s6, v12
	v_addc_co_u32_e32 v13, vcc, v15, v13, vcc
	global_load_dwordx4 v[15:18], v[12:13], off offset:1920
	ds_write2_b64 v56, v[8:9], v[10:11] offset1:1
	ds_write_b128 v14, v[0:3] offset:9600
	ds_read_b128 v[0:3], v57
	ds_read_b128 v[8:11], v14 offset:8640
	s_waitcnt lgkmcnt(0)
	v_add_f64 v[19:20], v[0:1], -v[8:9]
	v_add_f64 v[21:22], v[2:3], v[10:11]
	v_add_f64 v[2:3], v[2:3], -v[10:11]
	v_add_f64 v[0:1], v[0:1], v[8:9]
	v_mul_f64 v[10:11], v[19:20], 0.5
	v_mul_f64 v[19:20], v[21:22], 0.5
	v_mul_f64 v[2:3], v[2:3], 0.5
	s_waitcnt vmcnt(1)
	v_mul_f64 v[8:9], v[10:11], v[6:7]
	v_fma_f64 v[21:22], v[19:20], v[6:7], v[2:3]
	v_fma_f64 v[6:7], v[19:20], v[6:7], -v[2:3]
	v_fma_f64 v[23:24], v[0:1], 0.5, v[8:9]
	v_fma_f64 v[8:9], v[0:1], 0.5, -v[8:9]
	global_load_dwordx4 v[0:3], v[12:13], off offset:2880
	v_fma_f64 v[21:22], -v[4:5], v[10:11], v[21:22]
	v_fma_f64 v[6:7], -v[4:5], v[10:11], v[6:7]
	v_fma_f64 v[10:11], v[19:20], v[4:5], v[23:24]
	v_fma_f64 v[4:5], -v[19:20], v[4:5], v[8:9]
	ds_write2_b64 v57, v[10:11], v[21:22] offset1:1
	ds_write_b128 v14, v[4:7] offset:8640
	ds_read_b128 v[4:7], v56 offset:1920
	ds_read_b128 v[8:11], v14 offset:7680
	s_waitcnt lgkmcnt(0)
	v_add_f64 v[19:20], v[4:5], -v[8:9]
	v_add_f64 v[21:22], v[6:7], v[10:11]
	v_add_f64 v[6:7], v[6:7], -v[10:11]
	v_add_f64 v[4:5], v[4:5], v[8:9]
	v_mul_f64 v[10:11], v[19:20], 0.5
	v_mul_f64 v[19:20], v[21:22], 0.5
	;; [unrolled: 1-line block ×3, first 2 shown]
	s_waitcnt vmcnt(1)
	v_mul_f64 v[8:9], v[10:11], v[17:18]
	v_fma_f64 v[21:22], v[19:20], v[17:18], v[6:7]
	v_fma_f64 v[17:18], v[19:20], v[17:18], -v[6:7]
	v_fma_f64 v[23:24], v[4:5], 0.5, v[8:9]
	v_fma_f64 v[8:9], v[4:5], 0.5, -v[8:9]
	global_load_dwordx4 v[4:7], v[12:13], off offset:3840
	v_fma_f64 v[12:13], -v[15:16], v[10:11], v[21:22]
	v_fma_f64 v[10:11], -v[15:16], v[10:11], v[17:18]
	v_fma_f64 v[17:18], v[19:20], v[15:16], v[23:24]
	v_fma_f64 v[8:9], -v[19:20], v[15:16], v[8:9]
	ds_write2_b64 v56, v[17:18], v[12:13] offset0:240 offset1:241
	ds_write_b128 v14, v[8:11] offset:7680
	ds_read_b128 v[8:11], v56 offset:2880
	ds_read_b128 v[15:18], v14 offset:6720
	s_waitcnt lgkmcnt(0)
	v_add_f64 v[12:13], v[8:9], -v[15:16]
	v_add_f64 v[19:20], v[10:11], v[17:18]
	v_add_f64 v[10:11], v[10:11], -v[17:18]
	v_add_f64 v[8:9], v[8:9], v[15:16]
	v_mul_f64 v[12:13], v[12:13], 0.5
	v_mul_f64 v[17:18], v[19:20], 0.5
	;; [unrolled: 1-line block ×3, first 2 shown]
	s_waitcnt vmcnt(1)
	v_mul_f64 v[15:16], v[12:13], v[2:3]
	v_fma_f64 v[19:20], v[17:18], v[2:3], v[10:11]
	v_fma_f64 v[2:3], v[17:18], v[2:3], -v[10:11]
	v_fma_f64 v[10:11], v[8:9], 0.5, v[15:16]
	v_fma_f64 v[8:9], v[8:9], 0.5, -v[15:16]
	v_fma_f64 v[15:16], -v[0:1], v[12:13], v[19:20]
	v_fma_f64 v[2:3], -v[0:1], v[12:13], v[2:3]
	v_fma_f64 v[10:11], v[17:18], v[0:1], v[10:11]
	v_fma_f64 v[0:1], -v[17:18], v[0:1], v[8:9]
	v_add_u32_e32 v17, 0x800, v56
	ds_write2_b64 v17, v[10:11], v[15:16] offset0:104 offset1:105
	ds_write_b128 v14, v[0:3] offset:6720
	ds_read_b128 v[0:3], v56 offset:3840
	ds_read_b128 v[8:11], v14 offset:5760
	s_waitcnt lgkmcnt(0)
	v_add_f64 v[12:13], v[0:1], -v[8:9]
	v_add_f64 v[15:16], v[2:3], v[10:11]
	v_add_f64 v[2:3], v[2:3], -v[10:11]
	v_add_f64 v[0:1], v[0:1], v[8:9]
	v_mul_f64 v[10:11], v[12:13], 0.5
	v_mul_f64 v[12:13], v[15:16], 0.5
	;; [unrolled: 1-line block ×3, first 2 shown]
	s_waitcnt vmcnt(0)
	v_mul_f64 v[8:9], v[10:11], v[6:7]
	v_fma_f64 v[15:16], v[12:13], v[6:7], v[2:3]
	v_fma_f64 v[2:3], v[12:13], v[6:7], -v[2:3]
	v_fma_f64 v[6:7], v[0:1], 0.5, v[8:9]
	v_fma_f64 v[0:1], v[0:1], 0.5, -v[8:9]
	v_fma_f64 v[8:9], -v[4:5], v[10:11], v[15:16]
	v_fma_f64 v[2:3], -v[4:5], v[10:11], v[2:3]
	v_fma_f64 v[6:7], v[12:13], v[4:5], v[6:7]
	v_fma_f64 v[0:1], -v[12:13], v[4:5], v[0:1]
	ds_write2_b64 v17, v[6:7], v[8:9] offset0:224 offset1:225
	ds_write_b128 v14, v[0:3] offset:5760
	s_waitcnt lgkmcnt(0)
	; wave barrier
	s_waitcnt lgkmcnt(0)
	s_and_saveexec_b64 s[4:5], s[0:1]
	s_cbranch_execz .LBB0_24
; %bb.22:
	v_mul_lo_u32 v2, s3, v50
	v_mul_lo_u32 v3, s2, v51
	v_mad_u64_u32 v[0:1], s[0:1], s2, v50, 0
	v_mov_b32_e32 v6, s11
	v_lshl_add_u32 v12, v52, 4, 0
	v_add3_u32 v1, v1, v3, v2
	v_lshlrev_b64 v[0:1], 4, v[0:1]
	v_mov_b32_e32 v53, v55
	v_add_co_u32_e32 v0, vcc, s10, v0
	v_addc_co_u32_e32 v8, vcc, v6, v1, vcc
	v_lshlrev_b64 v[6:7], 4, v[48:49]
	ds_read_b128 v[2:5], v12
	v_add_co_u32_e32 v1, vcc, v0, v6
	v_addc_co_u32_e32 v0, vcc, v8, v7, vcc
	v_lshlrev_b64 v[6:7], 4, v[52:53]
	v_add_u32_e32 v54, 60, v52
	v_add_co_u32_e32 v10, vcc, v1, v6
	v_addc_co_u32_e32 v11, vcc, v0, v7, vcc
	ds_read_b128 v[6:9], v12 offset:960
	s_waitcnt lgkmcnt(1)
	global_store_dwordx4 v[10:11], v[2:5], off
	s_nop 0
	v_lshlrev_b64 v[2:3], 4, v[54:55]
	v_add_u32_e32 v54, 0x78, v52
	v_add_co_u32_e32 v2, vcc, v1, v2
	v_addc_co_u32_e32 v3, vcc, v0, v3, vcc
	s_waitcnt lgkmcnt(0)
	global_store_dwordx4 v[2:3], v[6:9], off
	ds_read_b128 v[2:5], v12 offset:1920
	v_lshlrev_b64 v[6:7], 4, v[54:55]
	v_add_u32_e32 v54, 0xb4, v52
	v_add_co_u32_e32 v10, vcc, v1, v6
	v_addc_co_u32_e32 v11, vcc, v0, v7, vcc
	ds_read_b128 v[6:9], v12 offset:2880
	s_waitcnt lgkmcnt(1)
	global_store_dwordx4 v[10:11], v[2:5], off
	s_nop 0
	v_lshlrev_b64 v[2:3], 4, v[54:55]
	v_add_u32_e32 v54, 0xf0, v52
	v_add_co_u32_e32 v2, vcc, v1, v2
	v_addc_co_u32_e32 v3, vcc, v0, v3, vcc
	s_waitcnt lgkmcnt(0)
	global_store_dwordx4 v[2:3], v[6:9], off
	ds_read_b128 v[2:5], v12 offset:3840
	v_lshlrev_b64 v[6:7], 4, v[54:55]
	v_add_u32_e32 v54, 0x12c, v52
	v_add_co_u32_e32 v10, vcc, v1, v6
	v_addc_co_u32_e32 v11, vcc, v0, v7, vcc
	ds_read_b128 v[6:9], v12 offset:4800
	s_waitcnt lgkmcnt(1)
	global_store_dwordx4 v[10:11], v[2:5], off
	s_nop 0
	v_lshlrev_b64 v[2:3], 4, v[54:55]
	v_add_u32_e32 v54, 0x168, v52
	v_add_co_u32_e32 v2, vcc, v1, v2
	v_addc_co_u32_e32 v3, vcc, v0, v3, vcc
	s_waitcnt lgkmcnt(0)
	global_store_dwordx4 v[2:3], v[6:9], off
	ds_read_b128 v[2:5], v12 offset:5760
	v_lshlrev_b64 v[6:7], 4, v[54:55]
	v_add_u32_e32 v54, 0x1a4, v52
	v_add_co_u32_e32 v10, vcc, v1, v6
	v_addc_co_u32_e32 v11, vcc, v0, v7, vcc
	ds_read_b128 v[6:9], v12 offset:6720
	s_waitcnt lgkmcnt(1)
	global_store_dwordx4 v[10:11], v[2:5], off
	s_nop 0
	v_lshlrev_b64 v[2:3], 4, v[54:55]
	v_add_u32_e32 v54, 0x1e0, v52
	v_add_co_u32_e32 v2, vcc, v1, v2
	v_addc_co_u32_e32 v3, vcc, v0, v3, vcc
	s_waitcnt lgkmcnt(0)
	global_store_dwordx4 v[2:3], v[6:9], off
	ds_read_b128 v[2:5], v12 offset:7680
	v_lshlrev_b64 v[6:7], 4, v[54:55]
	v_add_u32_e32 v54, 0x21c, v52
	v_add_co_u32_e32 v10, vcc, v1, v6
	v_addc_co_u32_e32 v11, vcc, v0, v7, vcc
	ds_read_b128 v[6:9], v12 offset:8640
	s_waitcnt lgkmcnt(1)
	global_store_dwordx4 v[10:11], v[2:5], off
	s_nop 0
	v_lshlrev_b64 v[2:3], 4, v[54:55]
	v_add_co_u32_e32 v2, vcc, v1, v2
	v_addc_co_u32_e32 v3, vcc, v0, v3, vcc
	v_cmp_eq_u32_e32 vcc, 59, v52
	s_waitcnt lgkmcnt(0)
	global_store_dwordx4 v[2:3], v[6:9], off
	s_and_b64 exec, exec, vcc
	s_cbranch_execz .LBB0_24
; %bb.23:
	v_mov_b32_e32 v2, 0
	ds_read_b128 v[2:5], v2 offset:9600
	v_add_co_u32_e32 v6, vcc, 0x2000, v1
	v_addc_co_u32_e32 v7, vcc, 0, v0, vcc
	s_waitcnt lgkmcnt(0)
	global_store_dwordx4 v[6:7], v[2:5], off offset:1408
.LBB0_24:
	s_endpgm
	.section	.rodata,"a",@progbits
	.p2align	6, 0x0
	.amdhsa_kernel fft_rtc_back_len600_factors_10_6_10_wgs_60_tpt_60_halfLds_dp_op_CI_CI_unitstride_sbrr_R2C_dirReg
		.amdhsa_group_segment_fixed_size 0
		.amdhsa_private_segment_fixed_size 0
		.amdhsa_kernarg_size 104
		.amdhsa_user_sgpr_count 6
		.amdhsa_user_sgpr_private_segment_buffer 1
		.amdhsa_user_sgpr_dispatch_ptr 0
		.amdhsa_user_sgpr_queue_ptr 0
		.amdhsa_user_sgpr_kernarg_segment_ptr 1
		.amdhsa_user_sgpr_dispatch_id 0
		.amdhsa_user_sgpr_flat_scratch_init 0
		.amdhsa_user_sgpr_private_segment_size 0
		.amdhsa_uses_dynamic_stack 0
		.amdhsa_system_sgpr_private_segment_wavefront_offset 0
		.amdhsa_system_sgpr_workgroup_id_x 1
		.amdhsa_system_sgpr_workgroup_id_y 0
		.amdhsa_system_sgpr_workgroup_id_z 0
		.amdhsa_system_sgpr_workgroup_info 0
		.amdhsa_system_vgpr_workitem_id 0
		.amdhsa_next_free_vgpr 78
		.amdhsa_next_free_sgpr 28
		.amdhsa_reserve_vcc 1
		.amdhsa_reserve_flat_scratch 0
		.amdhsa_float_round_mode_32 0
		.amdhsa_float_round_mode_16_64 0
		.amdhsa_float_denorm_mode_32 3
		.amdhsa_float_denorm_mode_16_64 3
		.amdhsa_dx10_clamp 1
		.amdhsa_ieee_mode 1
		.amdhsa_fp16_overflow 0
		.amdhsa_exception_fp_ieee_invalid_op 0
		.amdhsa_exception_fp_denorm_src 0
		.amdhsa_exception_fp_ieee_div_zero 0
		.amdhsa_exception_fp_ieee_overflow 0
		.amdhsa_exception_fp_ieee_underflow 0
		.amdhsa_exception_fp_ieee_inexact 0
		.amdhsa_exception_int_div_zero 0
	.end_amdhsa_kernel
	.text
.Lfunc_end0:
	.size	fft_rtc_back_len600_factors_10_6_10_wgs_60_tpt_60_halfLds_dp_op_CI_CI_unitstride_sbrr_R2C_dirReg, .Lfunc_end0-fft_rtc_back_len600_factors_10_6_10_wgs_60_tpt_60_halfLds_dp_op_CI_CI_unitstride_sbrr_R2C_dirReg
                                        ; -- End function
	.section	.AMDGPU.csdata,"",@progbits
; Kernel info:
; codeLenInByte = 8188
; NumSgprs: 32
; NumVgprs: 78
; ScratchSize: 0
; MemoryBound: 0
; FloatMode: 240
; IeeeMode: 1
; LDSByteSize: 0 bytes/workgroup (compile time only)
; SGPRBlocks: 3
; VGPRBlocks: 19
; NumSGPRsForWavesPerEU: 32
; NumVGPRsForWavesPerEU: 78
; Occupancy: 3
; WaveLimiterHint : 1
; COMPUTE_PGM_RSRC2:SCRATCH_EN: 0
; COMPUTE_PGM_RSRC2:USER_SGPR: 6
; COMPUTE_PGM_RSRC2:TRAP_HANDLER: 0
; COMPUTE_PGM_RSRC2:TGID_X_EN: 1
; COMPUTE_PGM_RSRC2:TGID_Y_EN: 0
; COMPUTE_PGM_RSRC2:TGID_Z_EN: 0
; COMPUTE_PGM_RSRC2:TIDIG_COMP_CNT: 0
	.type	__hip_cuid_eeb4ed64fa69a238,@object ; @__hip_cuid_eeb4ed64fa69a238
	.section	.bss,"aw",@nobits
	.globl	__hip_cuid_eeb4ed64fa69a238
__hip_cuid_eeb4ed64fa69a238:
	.byte	0                               ; 0x0
	.size	__hip_cuid_eeb4ed64fa69a238, 1

	.ident	"AMD clang version 19.0.0git (https://github.com/RadeonOpenCompute/llvm-project roc-6.4.0 25133 c7fe45cf4b819c5991fe208aaa96edf142730f1d)"
	.section	".note.GNU-stack","",@progbits
	.addrsig
	.addrsig_sym __hip_cuid_eeb4ed64fa69a238
	.amdgpu_metadata
---
amdhsa.kernels:
  - .args:
      - .actual_access:  read_only
        .address_space:  global
        .offset:         0
        .size:           8
        .value_kind:     global_buffer
      - .offset:         8
        .size:           8
        .value_kind:     by_value
      - .actual_access:  read_only
        .address_space:  global
        .offset:         16
        .size:           8
        .value_kind:     global_buffer
      - .actual_access:  read_only
        .address_space:  global
        .offset:         24
        .size:           8
        .value_kind:     global_buffer
      - .actual_access:  read_only
        .address_space:  global
        .offset:         32
        .size:           8
        .value_kind:     global_buffer
      - .offset:         40
        .size:           8
        .value_kind:     by_value
      - .actual_access:  read_only
        .address_space:  global
        .offset:         48
        .size:           8
        .value_kind:     global_buffer
      - .actual_access:  read_only
        .address_space:  global
        .offset:         56
        .size:           8
        .value_kind:     global_buffer
      - .offset:         64
        .size:           4
        .value_kind:     by_value
      - .actual_access:  read_only
        .address_space:  global
        .offset:         72
        .size:           8
        .value_kind:     global_buffer
      - .actual_access:  read_only
        .address_space:  global
        .offset:         80
        .size:           8
        .value_kind:     global_buffer
      - .actual_access:  read_only
        .address_space:  global
        .offset:         88
        .size:           8
        .value_kind:     global_buffer
      - .actual_access:  write_only
        .address_space:  global
        .offset:         96
        .size:           8
        .value_kind:     global_buffer
    .group_segment_fixed_size: 0
    .kernarg_segment_align: 8
    .kernarg_segment_size: 104
    .language:       OpenCL C
    .language_version:
      - 2
      - 0
    .max_flat_workgroup_size: 60
    .name:           fft_rtc_back_len600_factors_10_6_10_wgs_60_tpt_60_halfLds_dp_op_CI_CI_unitstride_sbrr_R2C_dirReg
    .private_segment_fixed_size: 0
    .sgpr_count:     32
    .sgpr_spill_count: 0
    .symbol:         fft_rtc_back_len600_factors_10_6_10_wgs_60_tpt_60_halfLds_dp_op_CI_CI_unitstride_sbrr_R2C_dirReg.kd
    .uniform_work_group_size: 1
    .uses_dynamic_stack: false
    .vgpr_count:     78
    .vgpr_spill_count: 0
    .wavefront_size: 64
amdhsa.target:   amdgcn-amd-amdhsa--gfx906
amdhsa.version:
  - 1
  - 2
...

	.end_amdgpu_metadata
